;; amdgpu-corpus repo=ROCm/rocFFT kind=compiled arch=gfx1030 opt=O3
	.text
	.amdgcn_target "amdgcn-amd-amdhsa--gfx1030"
	.amdhsa_code_object_version 6
	.protected	fft_rtc_fwd_len144_factors_6_6_4_wgs_120_tpt_12_halfLds_sp_ip_CI_unitstride_sbrr_C2R_dirReg ; -- Begin function fft_rtc_fwd_len144_factors_6_6_4_wgs_120_tpt_12_halfLds_sp_ip_CI_unitstride_sbrr_C2R_dirReg
	.globl	fft_rtc_fwd_len144_factors_6_6_4_wgs_120_tpt_12_halfLds_sp_ip_CI_unitstride_sbrr_C2R_dirReg
	.p2align	8
	.type	fft_rtc_fwd_len144_factors_6_6_4_wgs_120_tpt_12_halfLds_sp_ip_CI_unitstride_sbrr_C2R_dirReg,@function
fft_rtc_fwd_len144_factors_6_6_4_wgs_120_tpt_12_halfLds_sp_ip_CI_unitstride_sbrr_C2R_dirReg: ; @fft_rtc_fwd_len144_factors_6_6_4_wgs_120_tpt_12_halfLds_sp_ip_CI_unitstride_sbrr_C2R_dirReg
; %bb.0:
	s_load_dwordx4 s[8:11], s[4:5], 0x0
	v_mul_u32_u24_e32 v1, 0x1556, v0
	s_clause 0x1
	s_load_dwordx2 s[2:3], s[4:5], 0x50
	s_load_dwordx2 s[12:13], s[4:5], 0x18
	v_mov_b32_e32 v5, 0
	v_mov_b32_e32 v3, 0
	;; [unrolled: 1-line block ×3, first 2 shown]
	v_lshrrev_b32_e32 v1, 16, v1
	v_mad_u64_u32 v[1:2], null, s6, 10, v[1:2]
	v_mov_b32_e32 v2, v5
	v_mov_b32_e32 v10, v2
	;; [unrolled: 1-line block ×3, first 2 shown]
	s_waitcnt lgkmcnt(0)
	v_cmp_lt_u64_e64 s0, s[10:11], 2
	s_and_b32 vcc_lo, exec_lo, s0
	s_cbranch_vccnz .LBB0_8
; %bb.1:
	s_load_dwordx2 s[0:1], s[4:5], 0x10
	v_mov_b32_e32 v3, 0
	v_mov_b32_e32 v8, v2
	s_add_u32 s6, s12, 8
	v_mov_b32_e32 v4, 0
	v_mov_b32_e32 v7, v1
	s_addc_u32 s7, s13, 0
	s_mov_b64 s[16:17], 1
	s_waitcnt lgkmcnt(0)
	s_add_u32 s14, s0, 8
	s_addc_u32 s15, s1, 0
.LBB0_2:                                ; =>This Inner Loop Header: Depth=1
	s_load_dwordx2 s[18:19], s[14:15], 0x0
                                        ; implicit-def: $vgpr9_vgpr10
	s_mov_b32 s0, exec_lo
	s_waitcnt lgkmcnt(0)
	v_or_b32_e32 v6, s19, v8
	v_cmpx_ne_u64_e32 0, v[5:6]
	s_xor_b32 s1, exec_lo, s0
	s_cbranch_execz .LBB0_4
; %bb.3:                                ;   in Loop: Header=BB0_2 Depth=1
	v_cvt_f32_u32_e32 v2, s18
	v_cvt_f32_u32_e32 v6, s19
	s_sub_u32 s0, 0, s18
	s_subb_u32 s20, 0, s19
	v_fmac_f32_e32 v2, 0x4f800000, v6
	v_rcp_f32_e32 v2, v2
	v_mul_f32_e32 v2, 0x5f7ffffc, v2
	v_mul_f32_e32 v6, 0x2f800000, v2
	v_trunc_f32_e32 v6, v6
	v_fmac_f32_e32 v2, 0xcf800000, v6
	v_cvt_u32_f32_e32 v6, v6
	v_cvt_u32_f32_e32 v2, v2
	v_mul_lo_u32 v9, s0, v6
	v_mul_hi_u32 v10, s0, v2
	v_mul_lo_u32 v11, s20, v2
	v_add_nc_u32_e32 v9, v10, v9
	v_mul_lo_u32 v10, s0, v2
	v_add_nc_u32_e32 v9, v9, v11
	v_mul_hi_u32 v11, v2, v10
	v_mul_lo_u32 v12, v2, v9
	v_mul_hi_u32 v13, v2, v9
	v_mul_hi_u32 v14, v6, v10
	v_mul_lo_u32 v10, v6, v10
	v_mul_hi_u32 v15, v6, v9
	v_mul_lo_u32 v9, v6, v9
	v_add_co_u32 v11, vcc_lo, v11, v12
	v_add_co_ci_u32_e32 v12, vcc_lo, 0, v13, vcc_lo
	v_add_co_u32 v10, vcc_lo, v11, v10
	v_add_co_ci_u32_e32 v10, vcc_lo, v12, v14, vcc_lo
	v_add_co_ci_u32_e32 v11, vcc_lo, 0, v15, vcc_lo
	v_add_co_u32 v9, vcc_lo, v10, v9
	v_add_co_ci_u32_e32 v10, vcc_lo, 0, v11, vcc_lo
	v_add_co_u32 v2, vcc_lo, v2, v9
	v_add_co_ci_u32_e32 v6, vcc_lo, v6, v10, vcc_lo
	v_mul_hi_u32 v9, s0, v2
	v_mul_lo_u32 v11, s20, v2
	v_mul_lo_u32 v10, s0, v6
	v_add_nc_u32_e32 v9, v9, v10
	v_mul_lo_u32 v10, s0, v2
	v_add_nc_u32_e32 v9, v9, v11
	v_mul_hi_u32 v11, v2, v10
	v_mul_lo_u32 v12, v2, v9
	v_mul_hi_u32 v13, v2, v9
	v_mul_hi_u32 v14, v6, v10
	v_mul_lo_u32 v10, v6, v10
	v_mul_hi_u32 v15, v6, v9
	v_mul_lo_u32 v9, v6, v9
	v_add_co_u32 v11, vcc_lo, v11, v12
	v_add_co_ci_u32_e32 v12, vcc_lo, 0, v13, vcc_lo
	v_add_co_u32 v10, vcc_lo, v11, v10
	v_add_co_ci_u32_e32 v10, vcc_lo, v12, v14, vcc_lo
	v_add_co_ci_u32_e32 v11, vcc_lo, 0, v15, vcc_lo
	v_add_co_u32 v9, vcc_lo, v10, v9
	v_add_co_ci_u32_e32 v10, vcc_lo, 0, v11, vcc_lo
	v_add_co_u32 v2, vcc_lo, v2, v9
	v_add_co_ci_u32_e32 v6, vcc_lo, v6, v10, vcc_lo
	v_mul_hi_u32 v15, v7, v2
	v_mad_u64_u32 v[11:12], null, v8, v2, 0
	v_mad_u64_u32 v[9:10], null, v7, v6, 0
	v_mad_u64_u32 v[13:14], null, v8, v6, 0
	v_add_co_u32 v2, vcc_lo, v15, v9
	v_add_co_ci_u32_e32 v6, vcc_lo, 0, v10, vcc_lo
	v_add_co_u32 v2, vcc_lo, v2, v11
	v_add_co_ci_u32_e32 v2, vcc_lo, v6, v12, vcc_lo
	v_add_co_ci_u32_e32 v6, vcc_lo, 0, v14, vcc_lo
	v_add_co_u32 v2, vcc_lo, v2, v13
	v_add_co_ci_u32_e32 v6, vcc_lo, 0, v6, vcc_lo
	v_mul_lo_u32 v11, s19, v2
	v_mad_u64_u32 v[9:10], null, s18, v2, 0
	v_mul_lo_u32 v12, s18, v6
	v_sub_co_u32 v9, vcc_lo, v7, v9
	v_add3_u32 v10, v10, v12, v11
	v_sub_nc_u32_e32 v11, v8, v10
	v_subrev_co_ci_u32_e64 v11, s0, s19, v11, vcc_lo
	v_add_co_u32 v12, s0, v2, 2
	v_add_co_ci_u32_e64 v13, s0, 0, v6, s0
	v_sub_co_u32 v14, s0, v9, s18
	v_sub_co_ci_u32_e32 v10, vcc_lo, v8, v10, vcc_lo
	v_subrev_co_ci_u32_e64 v11, s0, 0, v11, s0
	v_cmp_le_u32_e32 vcc_lo, s18, v14
	v_cmp_eq_u32_e64 s0, s19, v10
	v_cndmask_b32_e64 v14, 0, -1, vcc_lo
	v_cmp_le_u32_e32 vcc_lo, s19, v11
	v_cndmask_b32_e64 v15, 0, -1, vcc_lo
	v_cmp_le_u32_e32 vcc_lo, s18, v9
	;; [unrolled: 2-line block ×3, first 2 shown]
	v_cndmask_b32_e64 v16, 0, -1, vcc_lo
	v_cmp_eq_u32_e32 vcc_lo, s19, v11
	v_cndmask_b32_e64 v9, v16, v9, s0
	v_cndmask_b32_e32 v11, v15, v14, vcc_lo
	v_add_co_u32 v14, vcc_lo, v2, 1
	v_add_co_ci_u32_e32 v15, vcc_lo, 0, v6, vcc_lo
	v_cmp_ne_u32_e32 vcc_lo, 0, v11
	v_cndmask_b32_e32 v10, v15, v13, vcc_lo
	v_cndmask_b32_e32 v11, v14, v12, vcc_lo
	v_cmp_ne_u32_e32 vcc_lo, 0, v9
	v_cndmask_b32_e32 v10, v6, v10, vcc_lo
	v_cndmask_b32_e32 v9, v2, v11, vcc_lo
.LBB0_4:                                ;   in Loop: Header=BB0_2 Depth=1
	s_andn2_saveexec_b32 s0, s1
	s_cbranch_execz .LBB0_6
; %bb.5:                                ;   in Loop: Header=BB0_2 Depth=1
	v_cvt_f32_u32_e32 v2, s18
	s_sub_i32 s1, 0, s18
	v_rcp_iflag_f32_e32 v2, v2
	v_mul_f32_e32 v2, 0x4f7ffffe, v2
	v_cvt_u32_f32_e32 v2, v2
	v_mul_lo_u32 v6, s1, v2
	v_mul_hi_u32 v6, v2, v6
	v_add_nc_u32_e32 v2, v2, v6
	v_mul_hi_u32 v2, v7, v2
	v_mul_lo_u32 v6, v2, s18
	v_add_nc_u32_e32 v9, 1, v2
	v_sub_nc_u32_e32 v6, v7, v6
	v_subrev_nc_u32_e32 v10, s18, v6
	v_cmp_le_u32_e32 vcc_lo, s18, v6
	v_cndmask_b32_e32 v6, v6, v10, vcc_lo
	v_cndmask_b32_e32 v2, v2, v9, vcc_lo
	v_mov_b32_e32 v10, v5
	v_cmp_le_u32_e32 vcc_lo, s18, v6
	v_add_nc_u32_e32 v9, 1, v2
	v_cndmask_b32_e32 v9, v2, v9, vcc_lo
.LBB0_6:                                ;   in Loop: Header=BB0_2 Depth=1
	s_or_b32 exec_lo, exec_lo, s0
	s_load_dwordx2 s[0:1], s[6:7], 0x0
	v_mul_lo_u32 v2, v10, s18
	v_mul_lo_u32 v6, v9, s19
	v_mad_u64_u32 v[11:12], null, v9, s18, 0
	s_add_u32 s16, s16, 1
	s_addc_u32 s17, s17, 0
	s_add_u32 s6, s6, 8
	s_addc_u32 s7, s7, 0
	;; [unrolled: 2-line block ×3, first 2 shown]
	v_add3_u32 v2, v12, v6, v2
	v_sub_co_u32 v6, vcc_lo, v7, v11
	v_sub_co_ci_u32_e32 v2, vcc_lo, v8, v2, vcc_lo
	s_waitcnt lgkmcnt(0)
	v_mul_lo_u32 v7, s1, v6
	v_mul_lo_u32 v2, s0, v2
	v_mad_u64_u32 v[3:4], null, s0, v6, v[3:4]
	v_cmp_ge_u64_e64 s0, s[16:17], s[10:11]
	s_and_b32 vcc_lo, exec_lo, s0
	v_add3_u32 v4, v7, v4, v2
	s_cbranch_vccnz .LBB0_8
; %bb.7:                                ;   in Loop: Header=BB0_2 Depth=1
	v_mov_b32_e32 v7, v9
	v_mov_b32_e32 v8, v10
	s_branch .LBB0_2
.LBB0_8:
	s_lshl_b64 s[0:1], s[10:11], 3
	v_mul_hi_u32 v2, 0xcccccccd, v1
	s_add_u32 s0, s12, s0
	s_addc_u32 s1, s13, s1
	s_load_dwordx2 s[4:5], s[4:5], 0x20
	s_load_dwordx2 s[0:1], s[0:1], 0x0
	v_mul_hi_u32 v5, 0x15555556, v0
	v_lshrrev_b32_e32 v2, 3, v2
	v_mul_lo_u32 v6, v2, 10
	v_sub_nc_u32_e32 v1, v1, v6
	s_waitcnt lgkmcnt(0)
	v_cmp_gt_u64_e32 vcc_lo, s[4:5], v[9:10]
	v_mul_lo_u32 v7, s0, v10
	v_mul_lo_u32 v8, s1, v9
	v_mad_u64_u32 v[2:3], null, s0, v9, v[3:4]
	v_mul_u32_u24_e32 v4, 12, v5
	v_mul_u32_u24_e32 v6, 0x91, v1
	v_sub_nc_u32_e32 v0, v0, v4
	v_add3_u32 v3, v8, v3, v7
	v_lshlrev_b32_e32 v10, 3, v6
	v_lshlrev_b64 v[2:3], 3, v[2:3]
	s_and_saveexec_b32 s1, vcc_lo
	s_cbranch_execz .LBB0_12
; %bb.9:
	v_mov_b32_e32 v1, 0
	v_add_co_u32 v4, s0, s2, v2
	v_add_co_ci_u32_e64 v5, s0, s3, v3, s0
	v_lshlrev_b64 v[7:8], 3, v[0:1]
	v_lshlrev_b32_e32 v1, 3, v0
	s_mov_b32 s4, exec_lo
	v_add3_u32 v1, 0, v10, v1
	v_add_co_u32 v7, s0, v4, v7
	v_add_co_ci_u32_e64 v8, s0, v5, v8, s0
	s_clause 0xb
	global_load_dwordx2 v[11:12], v[7:8], off
	global_load_dwordx2 v[13:14], v[7:8], off offset:96
	global_load_dwordx2 v[15:16], v[7:8], off offset:192
	;; [unrolled: 1-line block ×11, first 2 shown]
	s_waitcnt vmcnt(10)
	ds_write2_b64 v1, v[11:12], v[13:14] offset1:12
	s_waitcnt vmcnt(8)
	ds_write2_b64 v1, v[15:16], v[17:18] offset0:24 offset1:36
	s_waitcnt vmcnt(6)
	ds_write2_b64 v1, v[19:20], v[21:22] offset0:48 offset1:60
	;; [unrolled: 2-line block ×5, first 2 shown]
	v_cmpx_eq_u32_e32 11, v0
	s_cbranch_execz .LBB0_11
; %bb.10:
	global_load_dwordx2 v[4:5], v[4:5], off offset:1152
	v_mov_b32_e32 v0, 11
	s_waitcnt vmcnt(0)
	ds_write_b64 v1, v[4:5] offset:1064
.LBB0_11:
	s_or_b32 exec_lo, exec_lo, s4
.LBB0_12:
	s_or_b32 exec_lo, exec_lo, s1
	v_lshl_add_u32 v8, v6, 3, 0
	v_lshlrev_b32_e32 v12, 3, v0
	s_waitcnt lgkmcnt(0)
	s_barrier
	buffer_gl0_inv
	s_mov_b32 s1, exec_lo
	v_add_nc_u32_e32 v9, v8, v12
	v_sub_nc_u32_e32 v11, v8, v12
                                        ; implicit-def: $vgpr6_vgpr7
	ds_read_b32 v13, v9
	ds_read_b32 v14, v11 offset:1152
	s_waitcnt lgkmcnt(0)
	v_add_f32_e32 v4, v14, v13
	v_sub_f32_e32 v5, v13, v14
	v_cmpx_ne_u32_e32 0, v0
	s_xor_b32 s1, exec_lo, s1
	s_cbranch_execz .LBB0_14
; %bb.13:
	v_mov_b32_e32 v1, 0
	v_add_f32_e32 v15, v14, v13
	v_sub_f32_e32 v16, v13, v14
	v_lshlrev_b64 v[4:5], 3, v[0:1]
	v_add_co_u32 v4, s0, s8, v4
	v_add_co_ci_u32_e64 v5, s0, s9, v5, s0
	global_load_dwordx2 v[6:7], v[4:5], off offset:1104
	ds_read_b32 v4, v11 offset:1156
	ds_read_b32 v5, v9 offset:4
	s_waitcnt lgkmcnt(0)
	v_add_f32_e32 v17, v4, v5
	v_sub_f32_e32 v4, v5, v4
	s_waitcnt vmcnt(0)
	v_fma_f32 v13, -v16, v7, v15
	v_fma_f32 v14, v17, v7, -v4
	v_fma_f32 v18, v16, v7, v15
	v_fma_f32 v5, v17, v7, v4
	v_fmac_f32_e32 v13, v6, v17
	v_fmac_f32_e32 v14, v16, v6
	v_fma_f32 v4, -v6, v17, v18
	v_fmac_f32_e32 v5, v16, v6
	v_mov_b32_e32 v7, v1
	v_mov_b32_e32 v6, v0
	ds_write_b64 v11, v[13:14] offset:1152
.LBB0_14:
	s_andn2_saveexec_b32 s0, s1
	s_cbranch_execz .LBB0_16
; %bb.15:
	ds_read_b64 v[6:7], v8 offset:576
	s_waitcnt lgkmcnt(0)
	v_add_f32_e32 v13, v6, v6
	v_mul_f32_e32 v14, -2.0, v7
	v_mov_b32_e32 v6, 0
	v_mov_b32_e32 v7, 0
	ds_write_b64 v8, v[13:14] offset:576
.LBB0_16:
	s_or_b32 exec_lo, exec_lo, s0
	v_lshlrev_b64 v[6:7], 3, v[6:7]
	s_add_u32 s0, s8, 0x450
	s_addc_u32 s1, s9, 0
	v_add_nc_u16 v33, v0, 12
	v_add_co_u32 v6, s0, s0, v6
	v_add_co_ci_u32_e64 v7, s0, s1, v7, s0
	v_cmp_gt_u32_e64 s0, 6, v0
	s_clause 0x4
	global_load_dwordx2 v[13:14], v[6:7], off offset:96
	global_load_dwordx2 v[15:16], v[6:7], off offset:192
	;; [unrolled: 1-line block ×5, first 2 shown]
	ds_write_b64 v9, v[4:5]
	ds_read_b64 v[4:5], v9 offset:96
	ds_read_b64 v[21:22], v11 offset:1056
	s_waitcnt lgkmcnt(0)
	v_add_f32_e32 v1, v4, v21
	v_add_f32_e32 v23, v22, v5
	v_sub_f32_e32 v24, v4, v21
	v_sub_f32_e32 v4, v5, v22
	s_waitcnt vmcnt(4)
	v_fma_f32 v25, v24, v14, v1
	v_fma_f32 v5, v23, v14, v4
	v_fma_f32 v21, -v24, v14, v1
	v_fma_f32 v22, v23, v14, -v4
	v_fma_f32 v4, -v13, v23, v25
	v_fmac_f32_e32 v5, v24, v13
	v_fmac_f32_e32 v21, v13, v23
	v_fmac_f32_e32 v22, v24, v13
	ds_write_b64 v9, v[4:5] offset:96
	ds_write_b64 v11, v[21:22] offset:1056
	ds_read_b64 v[4:5], v9 offset:192
	ds_read_b64 v[13:14], v11 offset:960
	s_waitcnt lgkmcnt(0)
	v_add_f32_e32 v1, v4, v13
	v_add_f32_e32 v21, v14, v5
	v_sub_f32_e32 v22, v4, v13
	v_sub_f32_e32 v4, v5, v14
	s_waitcnt vmcnt(3)
	v_fma_f32 v23, v22, v16, v1
	v_fma_f32 v5, v21, v16, v4
	v_fma_f32 v13, -v22, v16, v1
	v_fma_f32 v14, v21, v16, -v4
	v_fma_f32 v4, -v15, v21, v23
	v_fmac_f32_e32 v5, v22, v15
	v_fmac_f32_e32 v13, v15, v21
	v_fmac_f32_e32 v14, v22, v15
	ds_write_b64 v9, v[4:5] offset:192
	ds_write_b64 v11, v[13:14] offset:960
	;; [unrolled: 18-line block ×3, first 2 shown]
	ds_read_b64 v[4:5], v9 offset:384
	ds_read_b64 v[13:14], v11 offset:768
	s_waitcnt lgkmcnt(0)
	v_add_f32_e32 v1, v4, v13
	v_add_f32_e32 v15, v14, v5
	v_sub_f32_e32 v16, v4, v13
	v_sub_f32_e32 v4, v5, v14
	s_waitcnt vmcnt(1)
	v_fma_f32 v17, v16, v20, v1
	v_fma_f32 v5, v15, v20, v4
	v_fma_f32 v13, -v16, v20, v1
	v_fma_f32 v14, v15, v20, -v4
	v_add3_u32 v1, 0, v12, v10
	v_fma_f32 v4, -v19, v15, v17
	v_fmac_f32_e32 v5, v16, v19
	v_fmac_f32_e32 v13, v19, v15
	;; [unrolled: 1-line block ×3, first 2 shown]
	ds_write_b64 v9, v[4:5] offset:384
	ds_write_b64 v11, v[13:14] offset:768
	ds_read_b64 v[4:5], v9 offset:480
	ds_read_b64 v[13:14], v11 offset:672
	v_add_nc_u32_e32 v12, -6, v0
	v_mad_u32_u24 v36, v0, 40, v1
	v_cndmask_b32_e64 v39, v12, v0, s0
	s_waitcnt lgkmcnt(0)
	v_add_f32_e32 v15, v4, v13
	v_add_f32_e32 v16, v14, v5
	v_sub_f32_e32 v4, v4, v13
	v_sub_f32_e32 v5, v5, v14
	s_waitcnt vmcnt(0)
	v_fma_f32 v12, v4, v7, v15
	v_fma_f32 v13, v16, v7, v5
	v_fma_f32 v14, -v4, v7, v15
	v_fma_f32 v15, v16, v7, -v5
	v_and_b32_e32 v7, 0xff, v33
	v_fma_f32 v12, -v6, v16, v12
	v_fmac_f32_e32 v13, v4, v6
	v_fmac_f32_e32 v14, v6, v16
	v_fmac_f32_e32 v15, v4, v6
	v_mul_lo_u16 v19, 0xab, v7
	ds_write_b64 v9, v[12:13] offset:480
	ds_write_b64 v11, v[14:15] offset:672
	s_waitcnt lgkmcnt(0)
	v_lshrrev_b16 v35, 10, v19
	s_barrier
	buffer_gl0_inv
	s_barrier
	v_mul_lo_u16 v34, v35, 6
	buffer_gl0_inv
	ds_read_b64 v[6:7], v9
	ds_read2_b64 v[11:14], v1 offset0:36 offset1:48
	ds_read2_b64 v[15:18], v1 offset0:84 offset1:96
	;; [unrolled: 1-line block ×5, first 2 shown]
	v_mov_b32_e32 v5, 0
	v_sub_nc_u16 v40, v33, v34
	ds_read_b64 v[33:34], v1 offset:1056
	v_mul_i32_i24_e32 v4, 5, v39
	s_waitcnt lgkmcnt(0)
	s_barrier
	buffer_gl0_inv
	v_lshlrev_b64 v[31:32], 3, v[4:5]
	v_mov_b32_e32 v4, 5
	v_add_co_u32 v31, s0, s8, v31
	v_add_co_ci_u32_e64 v32, s0, s9, v32, s0
	v_add_f32_e32 v37, v6, v13
	v_add_f32_e32 v42, v7, v14
	;; [unrolled: 1-line block ×4, first 2 shown]
	v_sub_f32_e32 v45, v26, v30
	v_add_f32_e32 v46, v22, v26
	v_add_f32_e32 v26, v26, v30
	;; [unrolled: 1-line block ×3, first 2 shown]
	v_sub_f32_e32 v49, v24, v28
	v_add_f32_e32 v50, v20, v24
	v_add_f32_e32 v24, v24, v28
	;; [unrolled: 1-line block ×3, first 2 shown]
	v_sub_f32_e32 v53, v16, v34
	v_add_f32_e32 v54, v12, v16
	v_add_f32_e32 v16, v16, v34
	v_sub_f32_e32 v41, v14, v18
	v_add_f32_e32 v14, v14, v18
	v_sub_f32_e32 v13, v13, v17
	v_sub_f32_e32 v25, v25, v29
	v_add_f32_e32 v47, v19, v23
	v_add_f32_e32 v51, v11, v15
	v_sub_f32_e32 v55, v15, v33
	v_add_f32_e32 v15, v37, v17
	v_add_f32_e32 v17, v42, v18
	;; [unrolled: 1-line block ×3, first 2 shown]
	v_fma_f32 v29, -0.5, v44, v21
	v_fma_f32 v26, -0.5, v26, v22
	v_add_f32_e32 v48, v23, v27
	v_sub_f32_e32 v23, v23, v27
	v_fma_f32 v6, -0.5, v38, v6
	v_fmac_f32_e32 v20, -0.5, v24
	v_fma_f32 v11, -0.5, v52, v11
	v_fmac_f32_e32 v12, -0.5, v16
	v_fmac_f32_e32 v7, -0.5, v14
	v_add_f32_e32 v21, v46, v30
	v_add_f32_e32 v22, v47, v27
	;; [unrolled: 1-line block ×5, first 2 shown]
	v_fmamk_f32 v34, v45, 0x3f5db3d7, v29
	v_fmamk_f32 v37, v25, 0xbf5db3d7, v26
	v_fmac_f32_e32 v29, 0xbf5db3d7, v45
	v_fmac_f32_e32 v26, 0x3f5db3d7, v25
	v_fmamk_f32 v30, v41, 0x3f5db3d7, v6
	v_fmac_f32_e32 v6, 0xbf5db3d7, v41
	v_fmamk_f32 v41, v23, 0xbf5db3d7, v20
	;; [unrolled: 2-line block ×3, first 2 shown]
	v_fmamk_f32 v25, v55, 0xbf5db3d7, v12
	v_fmac_f32_e32 v11, 0xbf5db3d7, v53
	v_fmac_f32_e32 v12, 0x3f5db3d7, v55
	v_fmamk_f32 v33, v13, 0xbf5db3d7, v7
	v_fmac_f32_e32 v7, 0x3f5db3d7, v13
	v_add_f32_e32 v13, v15, v18
	v_add_f32_e32 v14, v17, v21
	v_sub_f32_e32 v15, v15, v18
	v_sub_f32_e32 v16, v17, v21
	v_add_f32_e32 v17, v22, v24
	v_add_f32_e32 v18, v27, v28
	v_sub_f32_e32 v21, v22, v24
	v_sub_f32_e32 v22, v27, v28
	v_mul_f32_e32 v27, 0x3f5db3d7, v37
	v_mul_f32_e32 v42, 0xbf5db3d7, v34
	v_mul_f32_e32 v28, -0.5, v29
	v_mul_f32_e32 v43, -0.5, v26
	v_fma_f32 v19, -0.5, v48, v19
	v_mul_f32_e32 v44, 0x3f5db3d7, v25
	v_mul_f32_e32 v46, 0xbf5db3d7, v23
	v_mul_f32_e32 v45, -0.5, v11
	v_mul_f32_e32 v47, -0.5, v12
	v_fmac_f32_e32 v27, 0.5, v34
	v_fmac_f32_e32 v42, 0.5, v37
	v_fmac_f32_e32 v28, 0x3f5db3d7, v26
	v_fmac_f32_e32 v43, 0xbf5db3d7, v29
	v_fmamk_f32 v38, v49, 0x3f5db3d7, v19
	v_fmac_f32_e32 v44, 0.5, v23
	v_fmac_f32_e32 v46, 0.5, v25
	v_fmac_f32_e32 v19, 0xbf5db3d7, v49
	v_fmac_f32_e32 v45, 0x3f5db3d7, v12
	;; [unrolled: 1-line block ×3, first 2 shown]
	v_add_f32_e32 v11, v30, v27
	v_add_f32_e32 v12, v33, v42
	;; [unrolled: 1-line block ×4, first 2 shown]
	v_sub_f32_e32 v25, v30, v27
	v_sub_f32_e32 v6, v6, v28
	;; [unrolled: 1-line block ×4, first 2 shown]
	v_add_f32_e32 v27, v38, v44
	v_add_f32_e32 v28, v41, v46
	;; [unrolled: 1-line block ×4, first 2 shown]
	v_sub_f32_e32 v33, v38, v44
	v_sub_f32_e32 v19, v19, v45
	;; [unrolled: 1-line block ×4, first 2 shown]
	ds_write2_b64 v36, v[13:14], v[11:12] offset1:1
	ds_write2_b64 v36, v[23:24], v[15:16] offset0:2 offset1:3
	ds_write2_b64 v36, v[25:26], v[6:7] offset0:4 offset1:5
	ds_write2_b64 v36, v[17:18], v[27:28] offset0:72 offset1:73
	ds_write2_b64 v36, v[29:30], v[21:22] offset0:74 offset1:75
	ds_write2_b64 v36, v[33:34], v[19:20] offset0:76 offset1:77
	s_waitcnt lgkmcnt(0)
	s_barrier
	buffer_gl0_inv
	s_clause 0x1
	global_load_dwordx4 v[11:14], v[31:32], off
	global_load_dwordx4 v[15:18], v[31:32], off offset:16
	v_mul_u32_u24_sdwa v4, v40, v4 dst_sel:DWORD dst_unused:UNUSED_PAD src0_sel:BYTE_0 src1_sel:DWORD
	v_cmp_lt_u32_e64 s0, 5, v0
	v_mov_b32_e32 v42, 3
	v_and_b32_e32 v43, 0xffff, v35
	v_mul_u32_u24_e32 v44, 3, v0
	v_lshlrev_b32_e32 v4, 3, v4
	s_clause 0x3
	global_load_dwordx2 v[6:7], v[31:32], off offset:32
	global_load_dwordx4 v[19:22], v4, s[8:9]
	global_load_dwordx4 v[23:26], v4, s[8:9] offset:16
	global_load_dwordx2 v[47:48], v4, s[8:9] offset:32
	v_mad_i32_i24 v4, 0xffffffd8, v0, v36
	v_cndmask_b32_e64 v41, 0, 0x120, s0
	ds_read2_b64 v[31:34], v1 offset0:36 offset1:48
	v_lshlrev_b32_e32 v50, 3, v39
	v_lshlrev_b32_sdwa v52, v42, v40 dst_sel:DWORD dst_unused:UNUSED_PAD src0_sel:DWORD src1_sel:BYTE_0
	ds_read2_b64 v[27:30], v4 offset0:12 offset1:24
	v_add_nc_u32_e32 v49, 0, v41
	ds_read2_b64 v[39:42], v1 offset0:84 offset1:96
	ds_read2_b64 v[35:38], v1 offset0:60 offset1:72
	v_mad_u32_u24 v51, 0x120, v43, 0
	v_lshlrev_b32_e32 v53, 3, v44
	ds_read2_b64 v[43:46], v1 offset0:108 offset1:120
	v_add3_u32 v54, v49, v50, v10
	v_add3_u32 v55, v51, v52, v10
	ds_read_b64 v[49:50], v9
	ds_read_b64 v[51:52], v1 offset:1056
	s_waitcnt vmcnt(0) lgkmcnt(0)
	s_barrier
	buffer_gl0_inv
	v_mul_f32_e32 v10, v12, v30
	v_mul_f32_e32 v56, v12, v29
	;; [unrolled: 1-line block ×5, first 2 shown]
	v_fma_f32 v29, v11, v29, -v10
	v_fmac_f32_e32 v56, v11, v30
	v_fma_f32 v10, v13, v33, -v12
	v_mul_f32_e32 v11, v18, v42
	v_mul_f32_e32 v12, v18, v41
	;; [unrolled: 1-line block ×3, first 2 shown]
	v_fmac_f32_e32 v14, v13, v34
	v_mul_f32_e32 v13, v46, v7
	v_mul_f32_e32 v18, v32, v20
	v_fma_f32 v11, v17, v41, -v11
	v_fmac_f32_e32 v12, v17, v42
	v_mul_f32_e32 v17, v31, v20
	v_mul_f32_e32 v7, v45, v7
	v_fma_f32 v30, v15, v37, -v57
	;; [unrolled: 4-line block ×4, first 2 shown]
	v_fmac_f32_e32 v7, v46, v6
	v_mul_f32_e32 v6, v52, v48
	v_mul_f32_e32 v31, v51, v48
	;; [unrolled: 1-line block ×4, first 2 shown]
	v_fma_f32 v19, v39, v23, -v19
	v_fmac_f32_e32 v22, v40, v23
	v_fma_f32 v6, v51, v47, -v6
	v_fmac_f32_e32 v31, v52, v47
	;; [unrolled: 2-line block ×4, first 2 shown]
	v_add_f32_e32 v34, v30, v13
	v_sub_f32_e32 v35, v16, v7
	v_add_f32_e32 v36, v56, v16
	v_add_f32_e32 v16, v16, v7
	;; [unrolled: 1-line block ×3, first 2 shown]
	v_sub_f32_e32 v43, v22, v31
	v_add_f32_e32 v44, v17, v22
	v_add_f32_e32 v22, v22, v31
	;; [unrolled: 1-line block ×4, first 2 shown]
	v_sub_f32_e32 v25, v14, v12
	v_add_f32_e32 v32, v50, v14
	v_add_f32_e32 v14, v14, v12
	;; [unrolled: 1-line block ×3, first 2 shown]
	v_sub_f32_e32 v30, v30, v13
	v_add_f32_e32 v37, v27, v15
	v_add_f32_e32 v38, v15, v21
	v_sub_f32_e32 v39, v20, v26
	v_add_f32_e32 v40, v28, v20
	v_add_f32_e32 v20, v20, v26
	;; [unrolled: 1-line block ×3, first 2 shown]
	v_fmac_f32_e32 v29, -0.5, v34
	v_fmac_f32_e32 v56, -0.5, v16
	v_sub_f32_e32 v19, v19, v6
	v_fmac_f32_e32 v18, -0.5, v42
	v_fmac_f32_e32 v17, -0.5, v22
	v_sub_f32_e32 v10, v10, v11
	v_sub_f32_e32 v15, v15, v21
	v_add_f32_e32 v11, v23, v11
	v_fma_f32 v23, -0.5, v24, v49
	v_add_f32_e32 v12, v32, v12
	v_fmac_f32_e32 v50, -0.5, v14
	v_add_f32_e32 v13, v33, v13
	v_add_f32_e32 v14, v36, v7
	;; [unrolled: 1-line block ×3, first 2 shown]
	v_fma_f32 v32, -0.5, v38, v27
	v_add_f32_e32 v21, v40, v26
	v_fmac_f32_e32 v28, -0.5, v20
	v_add_f32_e32 v20, v41, v6
	v_add_f32_e32 v24, v44, v31
	v_fmamk_f32 v26, v35, 0x3f5db3d7, v29
	v_fmamk_f32 v27, v30, 0xbf5db3d7, v56
	v_fmac_f32_e32 v29, 0xbf5db3d7, v35
	v_fmac_f32_e32 v56, 0x3f5db3d7, v30
	v_fmamk_f32 v31, v43, 0x3f5db3d7, v18
	v_fmamk_f32 v34, v19, 0xbf5db3d7, v17
	v_fmac_f32_e32 v18, 0xbf5db3d7, v43
	v_fmac_f32_e32 v17, 0x3f5db3d7, v19
	v_fmamk_f32 v22, v25, 0x3f5db3d7, v23
	v_fmac_f32_e32 v23, 0xbf5db3d7, v25
	v_fmamk_f32 v25, v10, 0xbf5db3d7, v50
	v_fmac_f32_e32 v50, 0x3f5db3d7, v10
	v_add_f32_e32 v6, v11, v13
	v_add_f32_e32 v7, v12, v14
	v_sub_f32_e32 v10, v11, v13
	v_sub_f32_e32 v11, v12, v14
	v_fmamk_f32 v33, v15, 0xbf5db3d7, v28
	v_fmac_f32_e32 v28, 0x3f5db3d7, v15
	v_add_f32_e32 v12, v16, v20
	v_add_f32_e32 v13, v21, v24
	v_sub_f32_e32 v14, v16, v20
	v_sub_f32_e32 v15, v21, v24
	v_mul_f32_e32 v20, 0x3f5db3d7, v27
	v_mul_f32_e32 v24, 0xbf5db3d7, v26
	v_mul_f32_e32 v21, -0.5, v29
	v_mul_f32_e32 v35, -0.5, v56
	v_mul_f32_e32 v36, 0x3f5db3d7, v34
	v_mul_f32_e32 v38, 0xbf5db3d7, v31
	v_fmamk_f32 v30, v39, 0x3f5db3d7, v32
	v_fmac_f32_e32 v32, 0xbf5db3d7, v39
	v_mul_f32_e32 v37, -0.5, v18
	v_mul_f32_e32 v39, -0.5, v17
	v_fmac_f32_e32 v20, 0.5, v26
	v_fmac_f32_e32 v24, 0.5, v27
	v_fmac_f32_e32 v21, 0x3f5db3d7, v56
	v_fmac_f32_e32 v35, 0xbf5db3d7, v29
	v_fmac_f32_e32 v36, 0.5, v31
	v_fmac_f32_e32 v38, 0.5, v34
	v_fmac_f32_e32 v37, 0x3f5db3d7, v17
	v_fmac_f32_e32 v39, 0xbf5db3d7, v18
	v_add_f32_e32 v16, v22, v20
	v_add_f32_e32 v17, v25, v24
	;; [unrolled: 1-line block ×4, first 2 shown]
	v_sub_f32_e32 v20, v22, v20
	v_sub_f32_e32 v22, v23, v21
	;; [unrolled: 1-line block ×4, first 2 shown]
	v_add_f32_e32 v24, v30, v36
	v_add_f32_e32 v25, v33, v38
	;; [unrolled: 1-line block ×4, first 2 shown]
	v_sub_f32_e32 v29, v30, v36
	v_sub_f32_e32 v31, v32, v37
	;; [unrolled: 1-line block ×4, first 2 shown]
	ds_write2_b64 v54, v[6:7], v[16:17] offset1:6
	ds_write2_b64 v54, v[18:19], v[10:11] offset0:12 offset1:18
	ds_write2_b64 v54, v[20:21], v[22:23] offset0:24 offset1:30
	ds_write2_b64 v55, v[12:13], v[24:25] offset1:6
	ds_write2_b64 v55, v[26:27], v[14:15] offset0:12 offset1:18
	ds_write2_b64 v55, v[29:30], v[31:32] offset0:24 offset1:30
	s_waitcnt lgkmcnt(0)
	s_barrier
	buffer_gl0_inv
	s_clause 0x5
	global_load_dwordx4 v[10:13], v53, s[8:9] offset:240
	global_load_dwordx2 v[6:7], v53, s[8:9] offset:256
	global_load_dwordx4 v[14:17], v53, s[8:9] offset:528
	global_load_dwordx2 v[42:43], v53, s[8:9] offset:544
	;; [unrolled: 2-line block ×3, first 2 shown]
	ds_read2_b64 v[22:25], v1 offset0:36 offset1:48
	ds_read2_b64 v[26:29], v1 offset0:60 offset1:72
	;; [unrolled: 1-line block ×5, first 2 shown]
	ds_read_b64 v[46:47], v9
	ds_read_b64 v[48:49], v1 offset:1056
	v_add_nc_u32_e32 v50, 0x400, v4
	s_waitcnt vmcnt(0) lgkmcnt(0)
	s_barrier
	buffer_gl0_inv
	v_mul_f32_e32 v9, v11, v23
	v_mul_f32_e32 v11, v11, v22
	;; [unrolled: 1-line block ×11, first 2 shown]
	v_fma_f32 v9, v10, v22, -v9
	v_fmac_f32_e32 v11, v10, v23
	v_fma_f32 v10, v12, v28, -v51
	v_fmac_f32_e32 v13, v12, v29
	v_mul_f32_e32 v12, v32, v43
	v_mul_f32_e32 v22, v27, v19
	;; [unrolled: 1-line block ×4, first 2 shown]
	v_fma_f32 v24, v14, v24, -v53
	v_fmac_f32_e32 v15, v14, v25
	v_mul_f32_e32 v14, v36, v21
	v_mul_f32_e32 v21, v49, v45
	v_mul_f32_e32 v25, v48, v45
	v_fma_f32 v28, v6, v30, -v52
	v_fmac_f32_e32 v7, v6, v31
	v_fma_f32 v6, v16, v34, -v54
	v_fmac_f32_e32 v17, v16, v35
	;; [unrolled: 2-line block ×6, first 2 shown]
	v_sub_f32_e32 v21, v46, v10
	v_sub_f32_e32 v13, v47, v13
	;; [unrolled: 1-line block ×12, first 2 shown]
	v_fma_f32 v26, v46, 2.0, -v21
	v_fma_f32 v27, v47, 2.0, -v13
	;; [unrolled: 1-line block ×4, first 2 shown]
	v_sub_f32_e32 v6, v21, v7
	v_fma_f32 v28, v38, 2.0, -v23
	v_fma_f32 v29, v39, 2.0, -v17
	;; [unrolled: 1-line block ×4, first 2 shown]
	v_add_f32_e32 v31, v17, v16
	v_fma_f32 v32, v40, 2.0, -v18
	v_fma_f32 v33, v41, 2.0, -v14
	;; [unrolled: 1-line block ×4, first 2 shown]
	v_add_f32_e32 v7, v13, v10
	v_add_f32_e32 v20, v14, v20
	v_sub_f32_e32 v9, v26, v9
	v_sub_f32_e32 v10, v27, v11
	;; [unrolled: 1-line block ×4, first 2 shown]
	v_fma_f32 v11, v21, 2.0, -v6
	v_sub_f32_e32 v21, v28, v24
	v_sub_f32_e32 v24, v29, v15
	;; [unrolled: 1-line block ×4, first 2 shown]
	v_fma_f32 v12, v13, 2.0, -v7
	v_fma_f32 v36, v14, 2.0, -v20
	;; [unrolled: 1-line block ×11, first 2 shown]
	ds_write2_b64 v1, v[9:10], v[6:7] offset0:72 offset1:108
	ds_write2_b64 v1, v[13:14], v[11:12] offset1:36
	ds_write2_b32 v4, v23, v25 offset0:96 offset1:97
	ds_write2_b32 v4, v21, v24 offset0:168 offset1:169
	;; [unrolled: 1-line block ×3, first 2 shown]
	ds_write2_b64 v4, v[15:16], v[17:18] offset0:12 offset1:24
	ds_write2_b32 v4, v35, v36 offset0:120 offset1:121
	ds_write2_b32 v4, v34, v19 offset0:192 offset1:193
	;; [unrolled: 1-line block ×3, first 2 shown]
	s_waitcnt lgkmcnt(0)
	s_barrier
	buffer_gl0_inv
	s_and_saveexec_b32 s0, vcc_lo
	s_cbranch_execz .LBB0_18
; %bb.17:
	v_lshl_add_u32 v24, v0, 3, v8
	v_mov_b32_e32 v1, v5
	v_add_nc_u32_e32 v4, 12, v0
	v_add_co_u32 v25, vcc_lo, s2, v2
	ds_read2_b64 v[6:9], v24 offset1:12
	ds_read2_b64 v[10:13], v24 offset0:24 offset1:36
	v_lshlrev_b64 v[14:15], 3, v[0:1]
	v_lshlrev_b64 v[1:2], 3, v[4:5]
	v_add_nc_u32_e32 v4, 24, v0
	v_add_co_ci_u32_e32 v26, vcc_lo, s3, v3, vcc_lo
	v_add_co_u32 v14, vcc_lo, v25, v14
	v_lshlrev_b64 v[16:17], 3, v[4:5]
	v_add_nc_u32_e32 v4, 36, v0
	v_add_co_ci_u32_e32 v15, vcc_lo, v26, v15, vcc_lo
	v_add_co_u32 v1, vcc_lo, v25, v1
	v_add_co_ci_u32_e32 v2, vcc_lo, v26, v2, vcc_lo
	v_add_co_u32 v16, vcc_lo, v25, v16
	v_lshlrev_b64 v[18:19], 3, v[4:5]
	v_add_nc_u32_e32 v4, 48, v0
	v_add_co_ci_u32_e32 v17, vcc_lo, v26, v17, vcc_lo
	s_waitcnt lgkmcnt(1)
	global_store_dwordx2 v[14:15], v[6:7], off
	global_store_dwordx2 v[1:2], v[8:9], off
	s_waitcnt lgkmcnt(0)
	global_store_dwordx2 v[16:17], v[10:11], off
	v_lshlrev_b64 v[1:2], 3, v[4:5]
	v_add_nc_u32_e32 v4, 60, v0
	ds_read2_b64 v[6:9], v24 offset0:48 offset1:60
	v_add_co_u32 v10, vcc_lo, v25, v18
	ds_read2_b64 v[14:17], v24 offset0:72 offset1:84
	v_add_co_ci_u32_e32 v11, vcc_lo, v26, v19, vcc_lo
	v_lshlrev_b64 v[18:19], 3, v[4:5]
	v_add_nc_u32_e32 v4, 0x48, v0
	v_add_co_u32 v1, vcc_lo, v25, v1
	v_add_co_ci_u32_e32 v2, vcc_lo, v26, v2, vcc_lo
	v_lshlrev_b64 v[20:21], 3, v[4:5]
	v_add_nc_u32_e32 v4, 0x54, v0
	v_add_co_u32 v18, vcc_lo, v25, v18
	;; [unrolled: 4-line block ×3, first 2 shown]
	v_add_co_ci_u32_e32 v21, vcc_lo, v26, v21, vcc_lo
	global_store_dwordx2 v[10:11], v[12:13], off
	s_waitcnt lgkmcnt(1)
	global_store_dwordx2 v[1:2], v[6:7], off
	global_store_dwordx2 v[18:19], v[8:9], off
	s_waitcnt lgkmcnt(0)
	global_store_dwordx2 v[20:21], v[14:15], off
	v_lshlrev_b64 v[1:2], 3, v[4:5]
	v_add_nc_u32_e32 v4, 0x6c, v0
	ds_read2_b64 v[6:9], v24 offset0:96 offset1:108
	ds_read2_b64 v[10:13], v24 offset0:120 offset1:132
	v_add_co_u32 v14, vcc_lo, v25, v22
	v_lshlrev_b64 v[18:19], 3, v[4:5]
	v_add_nc_u32_e32 v4, 0x78, v0
	v_add_co_ci_u32_e32 v15, vcc_lo, v26, v23, vcc_lo
	v_add_co_u32 v1, vcc_lo, v25, v1
	v_lshlrev_b64 v[20:21], 3, v[4:5]
	v_add_nc_u32_e32 v4, 0x84, v0
	v_add_co_ci_u32_e32 v2, vcc_lo, v26, v2, vcc_lo
	v_add_co_u32 v18, vcc_lo, v25, v18
	v_lshlrev_b64 v[3:4], 3, v[4:5]
	v_add_co_ci_u32_e32 v19, vcc_lo, v26, v19, vcc_lo
	v_add_co_u32 v20, vcc_lo, v25, v20
	v_add_co_ci_u32_e32 v21, vcc_lo, v26, v21, vcc_lo
	v_add_co_u32 v3, vcc_lo, v25, v3
	v_add_co_ci_u32_e32 v4, vcc_lo, v26, v4, vcc_lo
	global_store_dwordx2 v[14:15], v[16:17], off
	s_waitcnt lgkmcnt(1)
	global_store_dwordx2 v[1:2], v[6:7], off
	global_store_dwordx2 v[18:19], v[8:9], off
	s_waitcnt lgkmcnt(0)
	global_store_dwordx2 v[20:21], v[10:11], off
	global_store_dwordx2 v[3:4], v[12:13], off
.LBB0_18:
	s_endpgm
	.section	.rodata,"a",@progbits
	.p2align	6, 0x0
	.amdhsa_kernel fft_rtc_fwd_len144_factors_6_6_4_wgs_120_tpt_12_halfLds_sp_ip_CI_unitstride_sbrr_C2R_dirReg
		.amdhsa_group_segment_fixed_size 0
		.amdhsa_private_segment_fixed_size 0
		.amdhsa_kernarg_size 88
		.amdhsa_user_sgpr_count 6
		.amdhsa_user_sgpr_private_segment_buffer 1
		.amdhsa_user_sgpr_dispatch_ptr 0
		.amdhsa_user_sgpr_queue_ptr 0
		.amdhsa_user_sgpr_kernarg_segment_ptr 1
		.amdhsa_user_sgpr_dispatch_id 0
		.amdhsa_user_sgpr_flat_scratch_init 0
		.amdhsa_user_sgpr_private_segment_size 0
		.amdhsa_wavefront_size32 1
		.amdhsa_uses_dynamic_stack 0
		.amdhsa_system_sgpr_private_segment_wavefront_offset 0
		.amdhsa_system_sgpr_workgroup_id_x 1
		.amdhsa_system_sgpr_workgroup_id_y 0
		.amdhsa_system_sgpr_workgroup_id_z 0
		.amdhsa_system_sgpr_workgroup_info 0
		.amdhsa_system_vgpr_workitem_id 0
		.amdhsa_next_free_vgpr 58
		.amdhsa_next_free_sgpr 21
		.amdhsa_reserve_vcc 1
		.amdhsa_reserve_flat_scratch 0
		.amdhsa_float_round_mode_32 0
		.amdhsa_float_round_mode_16_64 0
		.amdhsa_float_denorm_mode_32 3
		.amdhsa_float_denorm_mode_16_64 3
		.amdhsa_dx10_clamp 1
		.amdhsa_ieee_mode 1
		.amdhsa_fp16_overflow 0
		.amdhsa_workgroup_processor_mode 1
		.amdhsa_memory_ordered 1
		.amdhsa_forward_progress 0
		.amdhsa_shared_vgpr_count 0
		.amdhsa_exception_fp_ieee_invalid_op 0
		.amdhsa_exception_fp_denorm_src 0
		.amdhsa_exception_fp_ieee_div_zero 0
		.amdhsa_exception_fp_ieee_overflow 0
		.amdhsa_exception_fp_ieee_underflow 0
		.amdhsa_exception_fp_ieee_inexact 0
		.amdhsa_exception_int_div_zero 0
	.end_amdhsa_kernel
	.text
.Lfunc_end0:
	.size	fft_rtc_fwd_len144_factors_6_6_4_wgs_120_tpt_12_halfLds_sp_ip_CI_unitstride_sbrr_C2R_dirReg, .Lfunc_end0-fft_rtc_fwd_len144_factors_6_6_4_wgs_120_tpt_12_halfLds_sp_ip_CI_unitstride_sbrr_C2R_dirReg
                                        ; -- End function
	.section	.AMDGPU.csdata,"",@progbits
; Kernel info:
; codeLenInByte = 5344
; NumSgprs: 23
; NumVgprs: 58
; ScratchSize: 0
; MemoryBound: 0
; FloatMode: 240
; IeeeMode: 1
; LDSByteSize: 0 bytes/workgroup (compile time only)
; SGPRBlocks: 2
; VGPRBlocks: 7
; NumSGPRsForWavesPerEU: 23
; NumVGPRsForWavesPerEU: 58
; Occupancy: 16
; WaveLimiterHint : 1
; COMPUTE_PGM_RSRC2:SCRATCH_EN: 0
; COMPUTE_PGM_RSRC2:USER_SGPR: 6
; COMPUTE_PGM_RSRC2:TRAP_HANDLER: 0
; COMPUTE_PGM_RSRC2:TGID_X_EN: 1
; COMPUTE_PGM_RSRC2:TGID_Y_EN: 0
; COMPUTE_PGM_RSRC2:TGID_Z_EN: 0
; COMPUTE_PGM_RSRC2:TIDIG_COMP_CNT: 0
	.text
	.p2alignl 6, 3214868480
	.fill 48, 4, 3214868480
	.type	__hip_cuid_a982e05f2851863e,@object ; @__hip_cuid_a982e05f2851863e
	.section	.bss,"aw",@nobits
	.globl	__hip_cuid_a982e05f2851863e
__hip_cuid_a982e05f2851863e:
	.byte	0                               ; 0x0
	.size	__hip_cuid_a982e05f2851863e, 1

	.ident	"AMD clang version 19.0.0git (https://github.com/RadeonOpenCompute/llvm-project roc-6.4.0 25133 c7fe45cf4b819c5991fe208aaa96edf142730f1d)"
	.section	".note.GNU-stack","",@progbits
	.addrsig
	.addrsig_sym __hip_cuid_a982e05f2851863e
	.amdgpu_metadata
---
amdhsa.kernels:
  - .args:
      - .actual_access:  read_only
        .address_space:  global
        .offset:         0
        .size:           8
        .value_kind:     global_buffer
      - .offset:         8
        .size:           8
        .value_kind:     by_value
      - .actual_access:  read_only
        .address_space:  global
        .offset:         16
        .size:           8
        .value_kind:     global_buffer
      - .actual_access:  read_only
        .address_space:  global
        .offset:         24
        .size:           8
        .value_kind:     global_buffer
      - .offset:         32
        .size:           8
        .value_kind:     by_value
      - .actual_access:  read_only
        .address_space:  global
        .offset:         40
        .size:           8
        .value_kind:     global_buffer
      - .actual_access:  read_only
        .address_space:  global
        .offset:         48
        .size:           8
        .value_kind:     global_buffer
      - .offset:         56
        .size:           4
        .value_kind:     by_value
      - .actual_access:  read_only
        .address_space:  global
        .offset:         64
        .size:           8
        .value_kind:     global_buffer
      - .actual_access:  read_only
        .address_space:  global
        .offset:         72
        .size:           8
        .value_kind:     global_buffer
      - .address_space:  global
        .offset:         80
        .size:           8
        .value_kind:     global_buffer
    .group_segment_fixed_size: 0
    .kernarg_segment_align: 8
    .kernarg_segment_size: 88
    .language:       OpenCL C
    .language_version:
      - 2
      - 0
    .max_flat_workgroup_size: 120
    .name:           fft_rtc_fwd_len144_factors_6_6_4_wgs_120_tpt_12_halfLds_sp_ip_CI_unitstride_sbrr_C2R_dirReg
    .private_segment_fixed_size: 0
    .sgpr_count:     23
    .sgpr_spill_count: 0
    .symbol:         fft_rtc_fwd_len144_factors_6_6_4_wgs_120_tpt_12_halfLds_sp_ip_CI_unitstride_sbrr_C2R_dirReg.kd
    .uniform_work_group_size: 1
    .uses_dynamic_stack: false
    .vgpr_count:     58
    .vgpr_spill_count: 0
    .wavefront_size: 32
    .workgroup_processor_mode: 1
amdhsa.target:   amdgcn-amd-amdhsa--gfx1030
amdhsa.version:
  - 1
  - 2
...

	.end_amdgpu_metadata
